;; amdgpu-corpus repo=ROCm/rocFFT kind=compiled arch=gfx1201 opt=O3
	.text
	.amdgcn_target "amdgcn-amd-amdhsa--gfx1201"
	.amdhsa_code_object_version 6
	.protected	fft_rtc_back_len104_factors_13_8_wgs_64_tpt_8_halfLds_dp_ip_CI_unitstride_sbrr_R2C_dirReg ; -- Begin function fft_rtc_back_len104_factors_13_8_wgs_64_tpt_8_halfLds_dp_ip_CI_unitstride_sbrr_R2C_dirReg
	.globl	fft_rtc_back_len104_factors_13_8_wgs_64_tpt_8_halfLds_dp_ip_CI_unitstride_sbrr_R2C_dirReg
	.p2align	8
	.type	fft_rtc_back_len104_factors_13_8_wgs_64_tpt_8_halfLds_dp_ip_CI_unitstride_sbrr_R2C_dirReg,@function
fft_rtc_back_len104_factors_13_8_wgs_64_tpt_8_halfLds_dp_ip_CI_unitstride_sbrr_R2C_dirReg: ; @fft_rtc_back_len104_factors_13_8_wgs_64_tpt_8_halfLds_dp_ip_CI_unitstride_sbrr_R2C_dirReg
; %bb.0:
	s_clause 0x2
	s_load_b128 s[4:7], s[0:1], 0x0
	s_load_b64 s[8:9], s[0:1], 0x50
	s_load_b64 s[10:11], s[0:1], 0x18
	v_lshrrev_b32_e32 v9, 3, v0
	v_mov_b32_e32 v3, 0
	v_mov_b32_e32 v1, 0
	;; [unrolled: 1-line block ×3, first 2 shown]
	s_delay_alu instid0(VALU_DEP_4) | instskip(NEXT) | instid1(VALU_DEP_4)
	v_lshl_or_b32 v5, ttmp9, 3, v9
	v_mov_b32_e32 v6, v3
	s_wait_kmcnt 0x0
	v_cmp_lt_u64_e64 s2, s[6:7], 2
	s_delay_alu instid0(VALU_DEP_1)
	s_and_b32 vcc_lo, exec_lo, s2
	s_cbranch_vccnz .LBB0_8
; %bb.1:
	s_load_b64 s[2:3], s[0:1], 0x10
	v_mov_b32_e32 v1, 0
	v_mov_b32_e32 v2, 0
	s_add_nc_u64 s[12:13], s[10:11], 8
	s_mov_b64 s[14:15], 1
	s_wait_kmcnt 0x0
	s_add_nc_u64 s[16:17], s[2:3], 8
	s_mov_b32 s3, 0
.LBB0_2:                                ; =>This Inner Loop Header: Depth=1
	s_load_b64 s[18:19], s[16:17], 0x0
                                        ; implicit-def: $vgpr7_vgpr8
	s_mov_b32 s2, exec_lo
	s_wait_kmcnt 0x0
	v_or_b32_e32 v4, s19, v6
	s_delay_alu instid0(VALU_DEP_1)
	v_cmpx_ne_u64_e32 0, v[3:4]
	s_wait_alu 0xfffe
	s_xor_b32 s20, exec_lo, s2
	s_cbranch_execz .LBB0_4
; %bb.3:                                ;   in Loop: Header=BB0_2 Depth=1
	s_cvt_f32_u32 s2, s18
	s_cvt_f32_u32 s21, s19
	s_sub_nc_u64 s[24:25], 0, s[18:19]
	s_wait_alu 0xfffe
	s_delay_alu instid0(SALU_CYCLE_1) | instskip(SKIP_1) | instid1(SALU_CYCLE_2)
	s_fmamk_f32 s2, s21, 0x4f800000, s2
	s_wait_alu 0xfffe
	v_s_rcp_f32 s2, s2
	s_delay_alu instid0(TRANS32_DEP_1) | instskip(SKIP_1) | instid1(SALU_CYCLE_2)
	s_mul_f32 s2, s2, 0x5f7ffffc
	s_wait_alu 0xfffe
	s_mul_f32 s21, s2, 0x2f800000
	s_wait_alu 0xfffe
	s_delay_alu instid0(SALU_CYCLE_2) | instskip(SKIP_1) | instid1(SALU_CYCLE_2)
	s_trunc_f32 s21, s21
	s_wait_alu 0xfffe
	s_fmamk_f32 s2, s21, 0xcf800000, s2
	s_cvt_u32_f32 s23, s21
	s_wait_alu 0xfffe
	s_delay_alu instid0(SALU_CYCLE_1) | instskip(SKIP_1) | instid1(SALU_CYCLE_2)
	s_cvt_u32_f32 s22, s2
	s_wait_alu 0xfffe
	s_mul_u64 s[26:27], s[24:25], s[22:23]
	s_wait_alu 0xfffe
	s_mul_hi_u32 s29, s22, s27
	s_mul_i32 s28, s22, s27
	s_mul_hi_u32 s2, s22, s26
	s_mul_i32 s30, s23, s26
	s_wait_alu 0xfffe
	s_add_nc_u64 s[28:29], s[2:3], s[28:29]
	s_mul_hi_u32 s21, s23, s26
	s_mul_hi_u32 s31, s23, s27
	s_add_co_u32 s2, s28, s30
	s_wait_alu 0xfffe
	s_add_co_ci_u32 s2, s29, s21
	s_mul_i32 s26, s23, s27
	s_add_co_ci_u32 s27, s31, 0
	s_wait_alu 0xfffe
	s_add_nc_u64 s[26:27], s[2:3], s[26:27]
	s_wait_alu 0xfffe
	v_add_co_u32 v4, s2, s22, s26
	s_delay_alu instid0(VALU_DEP_1) | instskip(SKIP_1) | instid1(VALU_DEP_1)
	s_cmp_lg_u32 s2, 0
	s_add_co_ci_u32 s23, s23, s27
	v_readfirstlane_b32 s22, v4
	s_wait_alu 0xfffe
	s_delay_alu instid0(VALU_DEP_1)
	s_mul_u64 s[24:25], s[24:25], s[22:23]
	s_wait_alu 0xfffe
	s_mul_hi_u32 s27, s22, s25
	s_mul_i32 s26, s22, s25
	s_mul_hi_u32 s2, s22, s24
	s_mul_i32 s28, s23, s24
	s_wait_alu 0xfffe
	s_add_nc_u64 s[26:27], s[2:3], s[26:27]
	s_mul_hi_u32 s21, s23, s24
	s_mul_hi_u32 s22, s23, s25
	s_wait_alu 0xfffe
	s_add_co_u32 s2, s26, s28
	s_add_co_ci_u32 s2, s27, s21
	s_mul_i32 s24, s23, s25
	s_add_co_ci_u32 s25, s22, 0
	s_wait_alu 0xfffe
	s_add_nc_u64 s[24:25], s[2:3], s[24:25]
	s_wait_alu 0xfffe
	v_add_co_u32 v4, s2, v4, s24
	s_delay_alu instid0(VALU_DEP_1) | instskip(SKIP_1) | instid1(VALU_DEP_1)
	s_cmp_lg_u32 s2, 0
	s_add_co_ci_u32 s2, s23, s25
	v_mul_hi_u32 v14, v5, v4
	s_wait_alu 0xfffe
	v_mad_co_u64_u32 v[7:8], null, v5, s2, 0
	v_mad_co_u64_u32 v[10:11], null, v6, v4, 0
	;; [unrolled: 1-line block ×3, first 2 shown]
	s_delay_alu instid0(VALU_DEP_3) | instskip(SKIP_1) | instid1(VALU_DEP_4)
	v_add_co_u32 v4, vcc_lo, v14, v7
	s_wait_alu 0xfffd
	v_add_co_ci_u32_e32 v7, vcc_lo, 0, v8, vcc_lo
	s_delay_alu instid0(VALU_DEP_2) | instskip(SKIP_1) | instid1(VALU_DEP_2)
	v_add_co_u32 v4, vcc_lo, v4, v10
	s_wait_alu 0xfffd
	v_add_co_ci_u32_e32 v4, vcc_lo, v7, v11, vcc_lo
	s_wait_alu 0xfffd
	v_add_co_ci_u32_e32 v7, vcc_lo, 0, v13, vcc_lo
	s_delay_alu instid0(VALU_DEP_2) | instskip(SKIP_1) | instid1(VALU_DEP_2)
	v_add_co_u32 v4, vcc_lo, v4, v12
	s_wait_alu 0xfffd
	v_add_co_ci_u32_e32 v10, vcc_lo, 0, v7, vcc_lo
	s_delay_alu instid0(VALU_DEP_2) | instskip(SKIP_1) | instid1(VALU_DEP_3)
	v_mul_lo_u32 v11, s19, v4
	v_mad_co_u64_u32 v[7:8], null, s18, v4, 0
	v_mul_lo_u32 v12, s18, v10
	s_delay_alu instid0(VALU_DEP_2) | instskip(NEXT) | instid1(VALU_DEP_2)
	v_sub_co_u32 v7, vcc_lo, v5, v7
	v_add3_u32 v8, v8, v12, v11
	s_delay_alu instid0(VALU_DEP_1) | instskip(SKIP_1) | instid1(VALU_DEP_1)
	v_sub_nc_u32_e32 v11, v6, v8
	s_wait_alu 0xfffd
	v_subrev_co_ci_u32_e64 v11, s2, s19, v11, vcc_lo
	v_add_co_u32 v12, s2, v4, 2
	s_wait_alu 0xf1ff
	v_add_co_ci_u32_e64 v13, s2, 0, v10, s2
	v_sub_co_u32 v14, s2, v7, s18
	v_sub_co_ci_u32_e32 v8, vcc_lo, v6, v8, vcc_lo
	s_wait_alu 0xf1ff
	v_subrev_co_ci_u32_e64 v11, s2, 0, v11, s2
	s_delay_alu instid0(VALU_DEP_3) | instskip(NEXT) | instid1(VALU_DEP_3)
	v_cmp_le_u32_e32 vcc_lo, s18, v14
	v_cmp_eq_u32_e64 s2, s19, v8
	s_wait_alu 0xfffd
	v_cndmask_b32_e64 v14, 0, -1, vcc_lo
	v_cmp_le_u32_e32 vcc_lo, s19, v11
	s_wait_alu 0xfffd
	v_cndmask_b32_e64 v15, 0, -1, vcc_lo
	v_cmp_le_u32_e32 vcc_lo, s18, v7
	;; [unrolled: 3-line block ×3, first 2 shown]
	s_wait_alu 0xfffd
	v_cndmask_b32_e64 v16, 0, -1, vcc_lo
	v_cmp_eq_u32_e32 vcc_lo, s19, v11
	s_wait_alu 0xf1ff
	s_delay_alu instid0(VALU_DEP_2)
	v_cndmask_b32_e64 v7, v16, v7, s2
	s_wait_alu 0xfffd
	v_cndmask_b32_e32 v11, v15, v14, vcc_lo
	v_add_co_u32 v14, vcc_lo, v4, 1
	s_wait_alu 0xfffd
	v_add_co_ci_u32_e32 v15, vcc_lo, 0, v10, vcc_lo
	s_delay_alu instid0(VALU_DEP_3) | instskip(SKIP_1) | instid1(VALU_DEP_2)
	v_cmp_ne_u32_e32 vcc_lo, 0, v11
	s_wait_alu 0xfffd
	v_dual_cndmask_b32 v8, v15, v13 :: v_dual_cndmask_b32 v11, v14, v12
	v_cmp_ne_u32_e32 vcc_lo, 0, v7
	s_wait_alu 0xfffd
	s_delay_alu instid0(VALU_DEP_2)
	v_dual_cndmask_b32 v8, v10, v8 :: v_dual_cndmask_b32 v7, v4, v11
.LBB0_4:                                ;   in Loop: Header=BB0_2 Depth=1
	s_wait_alu 0xfffe
	s_and_not1_saveexec_b32 s2, s20
	s_cbranch_execz .LBB0_6
; %bb.5:                                ;   in Loop: Header=BB0_2 Depth=1
	v_cvt_f32_u32_e32 v4, s18
	s_sub_co_i32 s20, 0, s18
	s_delay_alu instid0(VALU_DEP_1) | instskip(NEXT) | instid1(TRANS32_DEP_1)
	v_rcp_iflag_f32_e32 v4, v4
	v_mul_f32_e32 v4, 0x4f7ffffe, v4
	s_delay_alu instid0(VALU_DEP_1) | instskip(SKIP_1) | instid1(VALU_DEP_1)
	v_cvt_u32_f32_e32 v4, v4
	s_wait_alu 0xfffe
	v_mul_lo_u32 v7, s20, v4
	s_delay_alu instid0(VALU_DEP_1) | instskip(NEXT) | instid1(VALU_DEP_1)
	v_mul_hi_u32 v7, v4, v7
	v_add_nc_u32_e32 v4, v4, v7
	s_delay_alu instid0(VALU_DEP_1) | instskip(NEXT) | instid1(VALU_DEP_1)
	v_mul_hi_u32 v4, v5, v4
	v_mul_lo_u32 v7, v4, s18
	v_add_nc_u32_e32 v8, 1, v4
	s_delay_alu instid0(VALU_DEP_2) | instskip(NEXT) | instid1(VALU_DEP_1)
	v_sub_nc_u32_e32 v7, v5, v7
	v_subrev_nc_u32_e32 v10, s18, v7
	v_cmp_le_u32_e32 vcc_lo, s18, v7
	s_wait_alu 0xfffd
	s_delay_alu instid0(VALU_DEP_2) | instskip(NEXT) | instid1(VALU_DEP_1)
	v_dual_cndmask_b32 v7, v7, v10 :: v_dual_cndmask_b32 v4, v4, v8
	v_cmp_le_u32_e32 vcc_lo, s18, v7
	s_delay_alu instid0(VALU_DEP_2) | instskip(SKIP_1) | instid1(VALU_DEP_1)
	v_add_nc_u32_e32 v8, 1, v4
	s_wait_alu 0xfffd
	v_dual_cndmask_b32 v7, v4, v8 :: v_dual_mov_b32 v8, v3
.LBB0_6:                                ;   in Loop: Header=BB0_2 Depth=1
	s_wait_alu 0xfffe
	s_or_b32 exec_lo, exec_lo, s2
	s_load_b64 s[20:21], s[12:13], 0x0
	s_delay_alu instid0(VALU_DEP_1)
	v_mul_lo_u32 v4, v8, s18
	v_mul_lo_u32 v12, v7, s19
	v_mad_co_u64_u32 v[10:11], null, v7, s18, 0
	s_add_nc_u64 s[14:15], s[14:15], 1
	s_add_nc_u64 s[12:13], s[12:13], 8
	s_wait_alu 0xfffe
	v_cmp_ge_u64_e64 s2, s[14:15], s[6:7]
	s_add_nc_u64 s[16:17], s[16:17], 8
	s_delay_alu instid0(VALU_DEP_2) | instskip(NEXT) | instid1(VALU_DEP_3)
	v_add3_u32 v4, v11, v12, v4
	v_sub_co_u32 v5, vcc_lo, v5, v10
	s_wait_alu 0xfffd
	s_delay_alu instid0(VALU_DEP_2) | instskip(SKIP_3) | instid1(VALU_DEP_2)
	v_sub_co_ci_u32_e32 v4, vcc_lo, v6, v4, vcc_lo
	s_and_b32 vcc_lo, exec_lo, s2
	s_wait_kmcnt 0x0
	v_mul_lo_u32 v6, s21, v5
	v_mul_lo_u32 v4, s20, v4
	v_mad_co_u64_u32 v[1:2], null, s20, v5, v[1:2]
	s_delay_alu instid0(VALU_DEP_1)
	v_add3_u32 v2, v6, v2, v4
	s_wait_alu 0xfffe
	s_cbranch_vccnz .LBB0_9
; %bb.7:                                ;   in Loop: Header=BB0_2 Depth=1
	v_dual_mov_b32 v5, v7 :: v_dual_mov_b32 v6, v8
	s_branch .LBB0_2
.LBB0_8:
	v_dual_mov_b32 v8, v6 :: v_dual_mov_b32 v7, v5
.LBB0_9:
	s_lshl_b64 s[2:3], s[6:7], 3
	v_and_b32_e32 v64, 7, v0
	s_wait_alu 0xfffe
	s_add_nc_u64 s[2:3], s[10:11], s[2:3]
	s_load_b64 s[2:3], s[2:3], 0x0
	s_load_b64 s[0:1], s[0:1], 0x20
	v_or_b32_e32 v68, 8, v64
	s_wait_kmcnt 0x0
	v_mul_lo_u32 v3, s2, v8
	v_mul_lo_u32 v4, s3, v7
	v_mad_co_u64_u32 v[1:2], null, s2, v7, v[1:2]
	v_cmp_gt_u64_e32 vcc_lo, s[0:1], v[7:8]
	v_cmp_le_u64_e64 s0, s[0:1], v[7:8]
	s_delay_alu instid0(VALU_DEP_3) | instskip(NEXT) | instid1(VALU_DEP_2)
	v_add3_u32 v2, v4, v2, v3
	s_and_saveexec_b32 s1, s0
	s_wait_alu 0xfffe
	s_xor_b32 s0, exec_lo, s1
; %bb.10:
	v_or_b32_e32 v68, 8, v64
; %bb.11:
	s_wait_alu 0xfffe
	s_or_saveexec_b32 s1, s0
	v_mul_u32_u24_e32 v0, 0x69, v9
	v_lshlrev_b64_e32 v[66:67], 4, v[1:2]
	v_lshlrev_b32_e32 v65, 4, v64
	s_delay_alu instid0(VALU_DEP_3)
	v_lshlrev_b32_e32 v69, 4, v0
	s_wait_alu 0xfffe
	s_xor_b32 exec_lo, exec_lo, s1
	s_cbranch_execz .LBB0_13
; %bb.12:
	v_add_co_u32 v0, s0, s8, v66
	s_wait_alu 0xf1ff
	v_add_co_ci_u32_e64 v1, s0, s9, v67, s0
	v_add3_u32 v52, 0, v69, v65
	s_delay_alu instid0(VALU_DEP_3) | instskip(SKIP_1) | instid1(VALU_DEP_3)
	v_add_co_u32 v48, s0, v0, v65
	s_wait_alu 0xf1ff
	v_add_co_ci_u32_e64 v49, s0, 0, v1, s0
	s_clause 0xc
	global_load_b128 v[0:3], v[48:49], off
	global_load_b128 v[4:7], v[48:49], off offset:128
	global_load_b128 v[8:11], v[48:49], off offset:256
	;; [unrolled: 1-line block ×12, first 2 shown]
	s_wait_loadcnt 0xc
	ds_store_b128 v52, v[0:3]
	s_wait_loadcnt 0xb
	ds_store_b128 v52, v[4:7] offset:128
	s_wait_loadcnt 0xa
	ds_store_b128 v52, v[8:11] offset:256
	;; [unrolled: 2-line block ×12, first 2 shown]
.LBB0_13:
	s_or_b32 exec_lo, exec_lo, s1
	v_add_nc_u32_e32 v71, 0, v69
	v_add3_u32 v72, 0, v65, v69
	global_wb scope:SCOPE_SE
	s_wait_dscnt 0x0
	s_barrier_signal -1
	s_barrier_wait -1
	v_add_nc_u32_e32 v70, v71, v65
	global_inv scope:SCOPE_SE
	s_mov_b32 s14, 0x4267c47c
	s_mov_b32 s0, 0xe00740e9
	ds_load_b128 v[20:23], v72 offset:128
	ds_load_b128 v[4:7], v70
	ds_load_b128 v[0:3], v72 offset:1536
	ds_load_b128 v[8:11], v72 offset:1408
	;; [unrolled: 1-line block ×7, first 2 shown]
	s_mov_b32 s12, 0x42a4c3d2
	s_mov_b32 s2, 0x1ea71119
	;; [unrolled: 1-line block ×16, first 2 shown]
	s_wait_dscnt 0x7
	v_add_f64_e32 v[38:39], v[4:5], v[20:21]
	v_add_f64_e32 v[40:41], v[6:7], v[22:23]
	s_wait_dscnt 0x2
	v_add_f64_e32 v[99:100], v[56:57], v[12:13]
	v_add_f64_e64 v[54:55], v[56:57], -v[12:13]
	v_add_f64_e64 v[85:86], v[58:59], -v[14:15]
	v_add_f64_e32 v[87:88], v[58:59], v[14:15]
	v_add_f64_e64 v[77:78], v[22:23], -v[2:3]
	v_add_f64_e32 v[79:80], v[22:23], v[2:3]
	ds_load_b128 v[73:76], v72 offset:640
	ds_load_b128 v[22:25], v72 offset:1024
	ds_load_b128 v[30:33], v72 offset:768
	ds_load_b128 v[26:29], v72 offset:896
	s_mov_b32 s7, 0xbfedeba7
	s_mov_b32 s19, 0xbfd6b1d8
	s_mov_b32 s21, 0xbfe5384d
	s_mov_b32 s23, 0xbfcea1e5
	s_mov_b32 s25, 0xbfe7f3cc
	s_mov_b32 s27, 0xbfef11f4
	v_add_f64_e64 v[81:82], v[36:37], -v[10:11]
	v_add_f64_e32 v[83:84], v[36:37], v[10:11]
	v_add_f64_e32 v[89:90], v[20:21], v[0:1]
	s_wait_dscnt 0x4
	v_add_f64_e64 v[101:102], v[62:63], -v[18:19]
	v_add_f64_e64 v[103:104], v[20:21], -v[0:1]
	s_mov_b32 s29, 0x3fddbe06
	s_mov_b32 s31, 0x3fea55e2
	;; [unrolled: 1-line block ×6, first 2 shown]
	s_wait_alu 0xfffe
	s_mov_b32 s28, s14
	s_mov_b32 s30, s12
	;; [unrolled: 1-line block ×6, first 2 shown]
	v_add_f64_e32 v[91:92], v[34:35], v[8:9]
	v_add_f64_e64 v[93:94], v[34:35], -v[8:9]
	v_add_f64_e32 v[52:53], v[60:61], v[16:17]
	v_add_f64_e32 v[50:51], v[62:63], v[18:19]
	v_add_f64_e64 v[48:49], v[60:61], -v[16:17]
	s_wait_dscnt 0x0
	v_add_f64_e64 v[20:21], v[30:31], -v[26:27]
	v_add_f64_e32 v[95:96], v[38:39], v[34:35]
	v_add_f64_e32 v[97:98], v[40:41], v[36:37]
	;; [unrolled: 1-line block ×4, first 2 shown]
	v_mul_f64_e32 v[129:130], s[22:23], v[85:86]
	v_mul_f64_e32 v[131:132], s[26:27], v[87:88]
	;; [unrolled: 1-line block ×34, first 2 shown]
	v_add_f64_e32 v[56:57], v[95:96], v[56:57]
	v_add_f64_e32 v[58:59], v[97:98], v[58:59]
	v_mul_f64_e32 v[95:96], s[24:25], v[83:84]
	v_mul_f64_e32 v[97:98], s[28:29], v[85:86]
	;; [unrolled: 1-line block ×8, first 2 shown]
	v_fma_f64 v[171:172], v[89:90], s[0:1], v[105:106]
	v_fma_f64 v[173:174], v[103:104], s[28:29], v[107:108]
	v_fma_f64 v[105:106], v[89:90], s[0:1], -v[105:106]
	v_fma_f64 v[107:108], v[103:104], s[14:15], v[107:108]
	v_fma_f64 v[175:176], v[89:90], s[2:3], v[109:110]
	v_fma_f64 v[177:178], v[103:104], s[30:31], v[111:112]
	v_fma_f64 v[109:110], v[89:90], s[2:3], -v[109:110]
	v_fma_f64 v[111:112], v[103:104], s[12:13], v[111:112]
	;; [unrolled: 4-line block ×4, first 2 shown]
	v_fma_f64 v[189:190], v[103:104], s[34:35], v[79:80]
	v_fma_f64 v[77:78], v[89:90], s[26:27], -v[77:78]
	v_fma_f64 v[79:80], v[103:104], s[22:23], v[79:80]
	v_add_f64_e64 v[40:41], v[32:33], -v[28:29]
	v_add_f64_e32 v[44:45], v[73:74], v[22:23]
	v_add_f64_e32 v[42:43], v[75:76], v[24:25]
	v_add_f64_e64 v[36:37], v[73:74], -v[22:23]
	v_add_f64_e64 v[46:47], v[75:76], -v[24:25]
	v_fma_f64 v[191:192], v[99:100], s[26:27], v[129:130]
	v_fma_f64 v[193:194], v[91:92], s[26:27], v[133:134]
	;; [unrolled: 1-line block ×4, first 2 shown]
	v_add_f64_e32 v[56:57], v[56:57], v[60:61]
	v_add_f64_e32 v[58:59], v[58:59], v[62:63]
	v_fma_f64 v[60:61], v[103:104], s[6:7], v[121:122]
	v_fma_f64 v[62:63], v[89:90], s[24:25], v[119:120]
	;; [unrolled: 1-line block ×3, first 2 shown]
	v_fma_f64 v[119:120], v[89:90], s[24:25], -v[119:120]
	v_fma_f64 v[123:124], v[103:104], s[20:21], v[123:124]
	v_fma_f64 v[89:90], v[91:92], s[18:19], v[125:126]
	;; [unrolled: 1-line block ×13, first 2 shown]
	v_fma_f64 v[81:82], v[91:92], s[2:3], -v[81:82]
	v_fma_f64 v[125:126], v[91:92], s[18:19], -v[125:126]
	;; [unrolled: 1-line block ×6, first 2 shown]
	v_fma_f64 v[149:150], v[93:94], s[30:31], v[83:84]
	v_fma_f64 v[83:84], v[93:94], s[12:13], v[83:84]
	;; [unrolled: 1-line block ×5, first 2 shown]
	v_fma_f64 v[129:130], v[99:100], s[26:27], -v[129:130]
	v_fma_f64 v[137:138], v[99:100], s[18:19], -v[137:138]
	;; [unrolled: 1-line block ×3, first 2 shown]
	v_add_f64_e32 v[105:106], v[4:5], v[105:106]
	v_add_f64_e32 v[107:108], v[6:7], v[107:108]
	;; [unrolled: 1-line block ×7, first 2 shown]
	v_fma_f64 v[73:74], v[93:94], s[36:37], v[145:146]
	v_fma_f64 v[75:76], v[93:94], s[28:29], v[151:152]
	;; [unrolled: 1-line block ×3, first 2 shown]
	v_fma_f64 v[85:86], v[99:100], s[10:11], -v[85:86]
	v_fma_f64 v[145:146], v[99:100], s[2:3], -v[147:148]
	;; [unrolled: 1-line block ×3, first 2 shown]
	v_fma_f64 v[147:148], v[54:55], s[36:37], v[155:156]
	v_fma_f64 v[151:152], v[54:55], s[16:17], v[155:156]
	;; [unrolled: 1-line block ×3, first 2 shown]
	v_add_f64_e32 v[155:156], v[4:5], v[171:172]
	v_add_f64_e32 v[171:172], v[6:7], v[173:174]
	;; [unrolled: 1-line block ×19, first 2 shown]
	v_fma_f64 v[77:78], v[54:55], s[40:41], v[139:140]
	v_fma_f64 v[79:80], v[54:55], s[14:15], v[157:158]
	;; [unrolled: 1-line block ×3, first 2 shown]
	v_fma_f64 v[163:164], v[52:53], s[24:25], -v[163:164]
	v_fma_f64 v[219:220], v[52:53], s[0:1], v[165:166]
	v_fma_f64 v[165:166], v[52:53], s[0:1], -v[165:166]
	v_fma_f64 v[221:222], v[52:53], s[10:11], v[167:168]
	v_fma_f64 v[167:168], v[52:53], s[10:11], -v[167:168]
	v_add_f64_e32 v[30:31], v[56:57], v[30:31]
	v_add_f64_e32 v[32:33], v[58:59], v[32:33]
	v_fma_f64 v[56:57], v[54:55], s[22:23], v[131:132]
	v_fma_f64 v[58:59], v[54:55], s[6:7], v[139:140]
	;; [unrolled: 1-line block ×8, first 2 shown]
	v_fma_f64 v[161:162], v[52:53], s[18:19], -v[161:162]
	v_mul_f64_e32 v[223:224], s[18:19], v[50:51]
	v_fma_f64 v[225:226], v[52:53], s[26:27], v[169:170]
	v_mul_f64_e32 v[227:228], s[24:25], v[50:51]
	v_fma_f64 v[169:170], v[52:53], s[26:27], -v[169:170]
	v_mul_f64_e32 v[229:230], s[0:1], v[50:51]
	v_fma_f64 v[231:232], v[52:53], s[2:3], v[101:102]
	v_mul_f64_e32 v[233:234], s[10:11], v[50:51]
	v_fma_f64 v[52:53], v[52:53], s[2:3], -v[101:102]
	v_mul_f64_e32 v[101:102], s[26:27], v[50:51]
	v_mul_f64_e32 v[50:51], s[2:3], v[50:51]
	v_add_f64_e32 v[155:156], v[217:218], v[155:156]
	v_add_f64_e32 v[62:63], v[205:206], v[62:63]
	;; [unrolled: 1-line block ×20, first 2 shown]
	v_mul_f64_e32 v[133:134], s[2:3], v[42:43]
	v_mul_f64_e32 v[95:96], s[26:27], v[42:43]
	;; [unrolled: 1-line block ×8, first 2 shown]
	v_fma_f64 v[30:31], v[48:49], s[40:41], v[223:224]
	v_fma_f64 v[32:33], v[48:49], s[6:7], v[223:224]
	;; [unrolled: 1-line block ×12, first 2 shown]
	v_add_f64_e32 v[50:51], v[89:90], v[173:174]
	v_add_f64_e32 v[89:90], v[103:104], v[175:176]
	;; [unrolled: 1-line block ×6, first 2 shown]
	v_mul_f64_e32 v[175:176], s[20:21], v[46:47]
	v_mul_f64_e32 v[179:180], s[36:37], v[46:47]
	;; [unrolled: 1-line block ×6, first 2 shown]
	v_add_f64_e32 v[62:63], v[209:210], v[62:63]
	v_add_f64_e32 v[121:122], v[139:140], v[121:122]
	;; [unrolled: 1-line block ×5, first 2 shown]
	v_mul_f64_e32 v[28:29], s[10:11], v[42:43]
	v_add_f64_e32 v[159:160], v[159:160], v[187:188]
	v_mul_f64_e32 v[42:43], s[24:25], v[42:43]
	v_add_f64_e32 v[93:94], v[93:94], v[155:156]
	v_add_f64_e32 v[81:82], v[85:86], v[81:82]
	;; [unrolled: 1-line block ×14, first 2 shown]
	v_fma_f64 v[185:186], v[36:37], s[30:31], v[133:134]
	v_mul_f64_e32 v[75:76], s[2:3], v[38:39]
	v_fma_f64 v[99:100], v[36:37], s[22:23], v[95:96]
	v_mul_f64_e32 v[127:128], s[18:19], v[38:39]
	v_add_f64_e32 v[50:51], v[191:192], v[50:51]
	v_add_f64_e32 v[89:90], v[153:154], v[89:90]
	;; [unrolled: 1-line block ×6, first 2 shown]
	v_fma_f64 v[199:200], v[44:45], s[24:25], v[175:176]
	v_fma_f64 v[175:176], v[44:45], s[24:25], -v[175:176]
	v_fma_f64 v[201:202], v[44:45], s[10:11], v[179:180]
	v_fma_f64 v[179:180], v[44:45], s[10:11], -v[179:180]
	v_fma_f64 v[205:206], v[44:45], s[2:3], v[183:184]
	v_fma_f64 v[183:184], v[44:45], s[2:3], -v[183:184]
	v_fma_f64 v[105:106], v[44:45], s[26:27], v[193:194]
	v_fma_f64 v[193:194], v[44:45], s[26:27], -v[193:194]
	v_fma_f64 v[107:108], v[44:45], s[0:1], v[195:196]
	v_add_f64_e32 v[16:17], v[22:23], v[16:17]
	v_add_f64_e32 v[18:19], v[24:25], v[18:19]
	v_fma_f64 v[195:196], v[44:45], s[0:1], -v[195:196]
	v_fma_f64 v[125:126], v[44:45], s[18:19], v[46:47]
	v_fma_f64 v[26:27], v[44:45], s[18:19], -v[46:47]
	v_mul_f64_e32 v[44:45], s[28:29], v[40:41]
	v_mul_f64_e32 v[46:47], s[0:1], v[38:39]
	v_fma_f64 v[22:23], v[36:37], s[16:17], v[28:29]
	v_mul_f64_e32 v[191:192], s[36:37], v[40:41]
	v_mul_f64_e32 v[40:41], s[22:23], v[40:41]
	v_fma_f64 v[115:116], v[36:37], s[14:15], v[143:144]
	v_add_f64_e32 v[62:63], v[225:226], v[62:63]
	v_add_f64_e32 v[121:122], v[239:240], v[121:122]
	v_mul_f64_e32 v[153:154], s[10:11], v[38:39]
	v_fma_f64 v[117:118], v[36:37], s[40:41], v[123:124]
	v_add_f64_e32 v[137:138], v[231:232], v[139:140]
	v_add_f64_e32 v[139:140], v[241:242], v[159:160]
	v_fma_f64 v[95:96], v[36:37], s[34:35], v[95:96]
	v_fma_f64 v[123:124], v[36:37], s[6:7], v[123:124]
	v_add_f64_e32 v[87:88], v[87:88], v[93:94]
	v_add_f64_e32 v[32:33], v[32:33], v[83:84]
	v_add_f64_e32 v[83:84], v[163:164], v[85:86]
	v_add_f64_e32 v[85:86], v[165:166], v[109:110]
	v_add_f64_e32 v[24:25], v[189:190], v[50:51]
	v_add_f64_e32 v[50:51], v[223:224], v[89:90]
	v_add_f64_e32 v[89:90], v[219:220], v[103:104]
	v_add_f64_e32 v[58:59], v[235:236], v[58:59]
	v_add_f64_e32 v[103:104], v[221:222], v[173:174]
	v_add_f64_e32 v[79:80], v[237:238], v[79:80]
	v_add_f64_e32 v[93:94], v[167:168], v[97:98]
	v_add_f64_e32 v[60:61], v[233:234], v[60:61]
	v_add_f64_e32 v[97:98], v[169:170], v[113:114]
	v_add_f64_e32 v[4:5], v[52:53], v[4:5]
	v_add_f64_e32 v[6:7], v[48:49], v[6:7]
	v_fma_f64 v[143:144], v[36:37], s[28:29], v[143:144]
	v_add_f64_e32 v[73:74], v[101:102], v[73:74]
	v_fma_f64 v[133:134], v[36:37], s[12:13], v[133:134]
	v_add_f64_e32 v[77:78], v[229:230], v[77:78]
	v_add_f64_e32 v[12:13], v[16:17], v[12:13]
	v_fma_f64 v[16:17], v[36:37], s[20:21], v[42:43]
	v_fma_f64 v[42:43], v[36:37], s[38:39], v[42:43]
	;; [unrolled: 1-line block ×3, first 2 shown]
	v_add_f64_e32 v[36:37], v[227:228], v[56:57]
	v_mul_f64_e32 v[38:39], s[26:27], v[38:39]
	v_add_f64_e32 v[81:82], v[161:162], v[81:82]
	v_add_f64_e32 v[30:31], v[30:31], v[129:130]
	;; [unrolled: 1-line block ×3, first 2 shown]
	v_fma_f64 v[177:178], v[34:35], s[0:1], v[44:45]
	v_fma_f64 v[181:182], v[20:21], s[14:15], v[46:47]
	;; [unrolled: 1-line block ×5, first 2 shown]
	v_fma_f64 v[109:110], v[34:35], s[26:27], -v[40:41]
	v_fma_f64 v[119:120], v[34:35], s[2:3], v[91:92]
	v_fma_f64 v[111:112], v[20:21], s[12:13], v[75:76]
	;; [unrolled: 1-line block ×4, first 2 shown]
	v_add_f64_e32 v[62:63], v[107:108], v[62:63]
	v_fma_f64 v[52:53], v[34:35], s[10:11], v[191:192]
	v_fma_f64 v[101:102], v[20:21], s[16:17], v[153:154]
	v_fma_f64 v[107:108], v[34:35], s[10:11], -v[191:192]
	v_add_f64_e32 v[18:19], v[201:202], v[24:25]
	v_add_f64_e32 v[22:23], v[22:23], v[50:51]
	v_add_f64_e32 v[40:41], v[205:206], v[89:90]
	v_add_f64_e32 v[50:51], v[185:186], v[58:59]
	v_add_f64_e32 v[58:59], v[105:106], v[103:104]
	v_add_f64_e32 v[79:80], v[99:100], v[79:80]
	v_add_f64_e32 v[89:90], v[115:116], v[121:122]
	v_add_f64_e32 v[99:100], v[125:126], v[137:138]
	v_add_f64_e32 v[103:104], v[117:118], v[139:140]
	v_add_f64_e32 v[60:61], v[95:96], v[60:61]
	v_add_f64_e32 v[95:96], v[26:27], v[4:5]
	v_add_f64_e32 v[6:7], v[123:124], v[6:7]
	v_fma_f64 v[105:106], v[34:35], s[18:19], -v[171:172]
	v_add_f64_e32 v[73:74], v[143:144], v[73:74]
	v_fma_f64 v[115:116], v[20:21], s[6:7], v[127:128]
	v_add_f64_e32 v[8:9], v[12:13], v[8:9]
	v_fma_f64 v[12:13], v[34:35], s[0:1], -v[44:45]
	v_fma_f64 v[44:45], v[34:35], s[24:25], -v[135:136]
	v_add_f64_e32 v[113:114], v[16:17], v[32:33]
	v_add_f64_e32 v[16:17], v[179:180], v[83:84]
	;; [unrolled: 1-line block ×5, first 2 shown]
	v_fma_f64 v[97:98], v[20:21], s[28:29], v[46:47]
	v_fma_f64 v[46:47], v[20:21], s[36:37], v[153:154]
	v_fma_f64 v[91:92], v[34:35], s[2:3], -v[91:92]
	v_fma_f64 v[75:76], v[20:21], s[30:31], v[75:76]
	v_add_f64_e32 v[77:78], v[133:134], v[77:78]
	v_fma_f64 v[117:118], v[20:21], s[20:21], v[141:142]
	v_add_f64_e32 v[121:122], v[28:29], v[36:37]
	v_add_f64_e32 v[81:82], v[175:176], v[81:82]
	v_fma_f64 v[123:124], v[20:21], s[22:23], v[38:39]
	v_add_f64_e32 v[87:88], v[199:200], v[87:88]
	;; [unrolled: 3-line block ×3, first 2 shown]
	v_add_f64_e32 v[36:37], v[131:132], v[62:63]
	global_wb scope:SCOPE_SE
	v_add_f64_e32 v[24:25], v[177:178], v[18:19]
	v_add_f64_e32 v[26:27], v[181:182], v[22:23]
	;; [unrolled: 1-line block ×9, first 2 shown]
	v_mad_u32_u24 v52, 0xd0, v64, v71
	s_barrier_signal -1
	s_barrier_wait -1
	global_inv scope:SCOPE_SE
	v_cmp_gt_u32_e64 s0, 5, v64
	v_add_f64_e32 v[18:19], v[115:116], v[73:74]
	v_add_f64_e32 v[0:1], v[8:9], v[0:1]
	v_lshlrev_b32_e32 v73, 4, v68
	v_add_f64_e32 v[12:13], v[12:13], v[16:17]
	v_add_f64_e32 v[8:9], v[44:45], v[83:84]
	;; [unrolled: 1-line block ×14, first 2 shown]
	ds_store_b128 v52, v[24:27] offset:32
	ds_store_b128 v52, v[28:31] offset:48
	;; [unrolled: 1-line block ×12, first 2 shown]
	ds_store_b128 v52, v[0:3]
	global_wb scope:SCOPE_SE
	s_wait_dscnt 0x0
	s_barrier_signal -1
	s_barrier_wait -1
	global_inv scope:SCOPE_SE
	ds_load_b128 v[32:35], v70
	ds_load_b128 v[60:63], v72 offset:208
	ds_load_b128 v[48:51], v72 offset:416
	;; [unrolled: 1-line block ×7, first 2 shown]
                                        ; implicit-def: $vgpr26_vgpr27
                                        ; implicit-def: $vgpr30_vgpr31
                                        ; implicit-def: $vgpr2_vgpr3
	s_and_saveexec_b32 s1, s0
	s_cbranch_execz .LBB0_15
; %bb.14:
	v_add3_u32 v16, 0, v73, v69
	ds_load_b128 v[4:7], v72 offset:336
	ds_load_b128 v[8:11], v72 offset:544
	;; [unrolled: 1-line block ×6, first 2 shown]
	ds_load_b128 v[16:19], v16
	ds_load_b128 v[28:31], v72 offset:1584
.LBB0_15:
	s_wait_alu 0xfffe
	s_or_b32 exec_lo, exec_lo, s1
	v_mul_u32_u24_e32 v74, 7, v64
	s_mov_b32 s2, 0x667f3bcd
	s_mov_b32 s3, 0xbfe6a09e
	;; [unrolled: 1-line block ×3, first 2 shown]
	s_wait_alu 0xfffe
	s_mov_b32 s6, s2
	v_lshlrev_b32_e32 v98, 4, v74
	v_cmp_gt_u32_e64 s1, 13, v68
	s_clause 0x6
	global_load_b128 v[74:77], v98, s[4:5]
	global_load_b128 v[78:81], v98, s[4:5] offset:16
	global_load_b128 v[82:85], v98, s[4:5] offset:48
	;; [unrolled: 1-line block ×6, first 2 shown]
	global_wb scope:SCOPE_SE
	s_wait_loadcnt_dscnt 0x0
	s_barrier_signal -1
	s_barrier_wait -1
	global_inv scope:SCOPE_SE
	v_mul_f64_e32 v[102:103], v[62:63], v[76:77]
	v_mul_f64_e32 v[76:77], v[60:61], v[76:77]
	;; [unrolled: 1-line block ×14, first 2 shown]
	v_fma_f64 v[60:61], v[60:61], v[74:75], v[102:103]
	v_fma_f64 v[62:63], v[62:63], v[74:75], -v[76:77]
	v_fma_f64 v[48:49], v[48:49], v[78:79], v[104:105]
	v_fma_f64 v[50:51], v[50:51], v[78:79], -v[80:81]
	;; [unrolled: 2-line block ×7, first 2 shown]
	v_add_f64_e64 v[52:53], v[32:33], -v[52:53]
	v_add_f64_e64 v[54:55], v[34:35], -v[54:55]
	;; [unrolled: 1-line block ×8, first 2 shown]
	v_fma_f64 v[32:33], v[32:33], 2.0, -v[52:53]
	v_fma_f64 v[34:35], v[34:35], 2.0, -v[54:55]
	;; [unrolled: 1-line block ×6, first 2 shown]
	v_add_f64_e32 v[58:59], v[52:53], v[58:59]
	v_add_f64_e64 v[56:57], v[54:55], -v[56:57]
	v_fma_f64 v[36:37], v[36:37], 2.0, -v[40:41]
	v_fma_f64 v[38:39], v[38:39], 2.0, -v[42:43]
	v_add_f64_e32 v[42:43], v[44:45], v[42:43]
	v_add_f64_e64 v[40:41], v[46:47], -v[40:41]
	v_add_f64_e64 v[48:49], v[32:33], -v[48:49]
	;; [unrolled: 1-line block ×3, first 2 shown]
	v_fma_f64 v[74:75], v[52:53], 2.0, -v[58:59]
	v_fma_f64 v[76:77], v[54:55], 2.0, -v[56:57]
	v_add_f64_e64 v[36:37], v[60:61], -v[36:37]
	v_add_f64_e64 v[38:39], v[62:63], -v[38:39]
	v_fma_f64 v[52:53], v[44:45], 2.0, -v[42:43]
	v_fma_f64 v[44:45], v[46:47], 2.0, -v[40:41]
	s_wait_alu 0xfffe
	v_fma_f64 v[46:47], v[42:43], s[6:7], v[58:59]
	v_fma_f64 v[54:55], v[40:41], s[6:7], v[56:57]
	v_fma_f64 v[78:79], v[32:33], 2.0, -v[48:49]
	v_fma_f64 v[80:81], v[34:35], 2.0, -v[50:51]
	;; [unrolled: 1-line block ×4, first 2 shown]
	v_fma_f64 v[82:83], v[52:53], s[2:3], v[74:75]
	v_fma_f64 v[84:85], v[44:45], s[2:3], v[76:77]
	v_add_f64_e32 v[32:33], v[48:49], v[38:39]
	v_add_f64_e64 v[34:35], v[50:51], -v[36:37]
	v_fma_f64 v[36:37], v[40:41], s[6:7], v[46:47]
	v_fma_f64 v[38:39], v[42:43], s[2:3], v[54:55]
	v_add_f64_e64 v[40:41], v[78:79], -v[60:61]
	v_add_f64_e64 v[42:43], v[80:81], -v[62:63]
	v_fma_f64 v[44:45], v[44:45], s[6:7], v[82:83]
	v_fma_f64 v[46:47], v[52:53], s[2:3], v[84:85]
	v_fma_f64 v[48:49], v[48:49], 2.0, -v[32:33]
	v_fma_f64 v[50:51], v[50:51], 2.0, -v[34:35]
	;; [unrolled: 1-line block ×8, first 2 shown]
	ds_store_b128 v72, v[48:51] offset:416
	ds_store_b128 v72, v[52:55] offset:624
	;; [unrolled: 1-line block ×4, first 2 shown]
	ds_store_b128 v72, v[56:59]
	ds_store_b128 v72, v[60:63] offset:208
	ds_store_b128 v72, v[32:35] offset:1248
	;; [unrolled: 1-line block ×3, first 2 shown]
	s_and_saveexec_b32 s10, s0
	s_cbranch_execz .LBB0_17
; %bb.16:
	v_dual_mov_b32 v33, 0 :: v_dual_add_nc_u32 v32, -5, v64
	s_delay_alu instid0(VALU_DEP_1) | instskip(NEXT) | instid1(VALU_DEP_1)
	v_cndmask_b32_e64 v32, v32, v68, s1
	v_mul_i32_i24_e32 v32, 7, v32
	s_delay_alu instid0(VALU_DEP_1) | instskip(NEXT) | instid1(VALU_DEP_1)
	v_lshlrev_b64_e32 v[32:33], 4, v[32:33]
	v_add_co_u32 v56, s0, s4, v32
	s_wait_alu 0xf1ff
	s_delay_alu instid0(VALU_DEP_2)
	v_add_co_ci_u32_e64 v57, s0, s5, v33, s0
	s_clause 0x6
	global_load_b128 v[32:35], v[56:57], off offset:48
	global_load_b128 v[36:39], v[56:57], off offset:16
	;; [unrolled: 1-line block ×3, first 2 shown]
	global_load_b128 v[44:47], v[56:57], off
	global_load_b128 v[48:51], v[56:57], off offset:64
	global_load_b128 v[52:55], v[56:57], off offset:32
	;; [unrolled: 1-line block ×3, first 2 shown]
	s_wait_loadcnt 0x6
	v_mul_f64_e32 v[60:61], v[20:21], v[34:35]
	s_wait_loadcnt 0x5
	v_mul_f64_e32 v[62:63], v[10:11], v[38:39]
	;; [unrolled: 2-line block ×7, first 2 shown]
	v_mul_f64_e32 v[46:47], v[6:7], v[46:47]
	v_mul_f64_e32 v[38:39], v[8:9], v[38:39]
	;; [unrolled: 1-line block ×7, first 2 shown]
	v_fma_f64 v[22:23], v[22:23], v[32:33], -v[60:61]
	v_fma_f64 v[8:9], v[8:9], v[36:37], v[62:63]
	v_fma_f64 v[24:25], v[24:25], v[40:41], v[74:75]
	v_fma_f64 v[6:7], v[6:7], v[44:45], -v[76:77]
	v_fma_f64 v[2:3], v[2:3], v[48:49], -v[78:79]
	v_fma_f64 v[12:13], v[12:13], v[52:53], v[80:81]
	v_fma_f64 v[28:29], v[28:29], v[56:57], v[82:83]
	;; [unrolled: 1-line block ×3, first 2 shown]
	v_fma_f64 v[10:11], v[10:11], v[36:37], -v[38:39]
	v_fma_f64 v[26:27], v[26:27], v[40:41], -v[42:43]
	v_fma_f64 v[0:1], v[0:1], v[48:49], v[50:51]
	v_fma_f64 v[20:21], v[20:21], v[32:33], v[34:35]
	v_fma_f64 v[14:15], v[14:15], v[52:53], -v[54:55]
	v_fma_f64 v[30:31], v[30:31], v[56:57], -v[58:59]
	v_add_f64_e64 v[22:23], v[18:19], -v[22:23]
	v_add_f64_e64 v[24:25], v[8:9], -v[24:25]
	;; [unrolled: 1-line block ×8, first 2 shown]
	v_fma_f64 v[18:19], v[18:19], 2.0, -v[22:23]
	v_add_f64_e64 v[32:33], v[22:23], -v[24:25]
	v_fma_f64 v[8:9], v[8:9], 2.0, -v[24:25]
	v_fma_f64 v[6:7], v[6:7], 2.0, -v[2:3]
	v_add_f64_e64 v[34:35], v[2:3], -v[28:29]
	v_fma_f64 v[12:13], v[12:13], 2.0, -v[28:29]
	v_fma_f64 v[10:11], v[10:11], 2.0, -v[26:27]
	v_fma_f64 v[4:5], v[4:5], 2.0, -v[0:1]
	v_fma_f64 v[16:17], v[16:17], 2.0, -v[20:21]
	v_add_f64_e32 v[36:37], v[20:21], v[26:27]
	v_fma_f64 v[14:15], v[14:15], 2.0, -v[30:31]
	v_add_f64_e32 v[24:25], v[0:1], v[30:31]
	v_fma_f64 v[28:29], v[22:23], 2.0, -v[32:33]
	v_fma_f64 v[22:23], v[2:3], 2.0, -v[34:35]
	v_fma_f64 v[2:3], v[34:35], s[6:7], v[32:33]
	v_add_f64_e64 v[26:27], v[18:19], -v[10:11]
	v_add_f64_e64 v[10:11], v[4:5], -v[12:13]
	v_add_f64_e64 v[38:39], v[16:17], -v[8:9]
	v_fma_f64 v[20:21], v[20:21], 2.0, -v[36:37]
	v_add_f64_e64 v[30:31], v[6:7], -v[14:15]
	v_fma_f64 v[0:1], v[0:1], 2.0, -v[24:25]
	v_fma_f64 v[42:43], v[24:25], s[6:7], v[36:37]
	v_fma_f64 v[8:9], v[22:23], s[2:3], v[28:29]
	;; [unrolled: 1-line block ×3, first 2 shown]
	v_fma_f64 v[40:41], v[18:19], 2.0, -v[26:27]
	v_fma_f64 v[4:5], v[4:5], 2.0, -v[10:11]
	v_fma_f64 v[16:17], v[16:17], 2.0, -v[38:39]
	v_fma_f64 v[12:13], v[6:7], 2.0, -v[30:31]
	v_fma_f64 v[18:19], v[0:1], s[2:3], v[20:21]
	v_add_f64_e64 v[6:7], v[26:27], -v[10:11]
	v_fma_f64 v[10:11], v[0:1], s[2:3], v[8:9]
	v_fma_f64 v[0:1], v[34:35], s[6:7], v[42:43]
	v_add_f64_e64 v[14:15], v[40:41], -v[12:13]
	v_add_f64_e64 v[12:13], v[16:17], -v[4:5]
	v_fma_f64 v[8:9], v[22:23], s[6:7], v[18:19]
	v_add_f64_e32 v[4:5], v[38:39], v[30:31]
	v_fma_f64 v[22:23], v[26:27], 2.0, -v[6:7]
	v_fma_f64 v[18:19], v[32:33], 2.0, -v[2:3]
	v_add3_u32 v32, 0, v73, v69
	v_fma_f64 v[26:27], v[28:29], 2.0, -v[10:11]
	v_fma_f64 v[30:31], v[40:41], 2.0, -v[14:15]
	v_fma_f64 v[28:29], v[16:17], 2.0, -v[12:13]
	v_fma_f64 v[24:25], v[20:21], 2.0, -v[8:9]
	v_fma_f64 v[20:21], v[38:39], 2.0, -v[4:5]
	v_fma_f64 v[16:17], v[36:37], 2.0, -v[0:1]
	ds_store_b128 v32, v[28:31]
	ds_store_b128 v72, v[24:27] offset:336
	ds_store_b128 v72, v[20:23] offset:544
	;; [unrolled: 1-line block ×7, first 2 shown]
.LBB0_17:
	s_wait_alu 0xfffe
	s_or_b32 exec_lo, exec_lo, s10
	global_wb scope:SCOPE_SE
	s_wait_dscnt 0x0
	s_barrier_signal -1
	s_barrier_wait -1
	global_inv scope:SCOPE_SE
	ds_load_b128 v[4:7], v70
	v_sub_nc_u32_e32 v12, v71, v65
	v_cmp_ne_u32_e64 s0, 0, v64
                                        ; implicit-def: $vgpr2_vgpr3
                                        ; implicit-def: $vgpr8_vgpr9
                                        ; implicit-def: $vgpr10_vgpr11
	s_delay_alu instid0(VALU_DEP_1)
	s_and_saveexec_b32 s1, s0
	s_wait_alu 0xfffe
	s_xor_b32 s0, exec_lo, s1
	s_cbranch_execz .LBB0_19
; %bb.18:
	global_load_b128 v[13:16], v65, s[4:5] offset:1456
	ds_load_b128 v[0:3], v12 offset:1664
	v_mov_b32_e32 v65, 0
	s_wait_dscnt 0x0
	v_add_f64_e64 v[8:9], v[4:5], -v[0:1]
	v_add_f64_e32 v[10:11], v[6:7], v[2:3]
	v_add_f64_e64 v[2:3], v[6:7], -v[2:3]
	v_add_f64_e32 v[0:1], v[4:5], v[0:1]
	s_delay_alu instid0(VALU_DEP_4) | instskip(NEXT) | instid1(VALU_DEP_4)
	v_mul_f64_e32 v[6:7], 0.5, v[8:9]
	v_mul_f64_e32 v[4:5], 0.5, v[10:11]
	s_delay_alu instid0(VALU_DEP_4) | instskip(SKIP_1) | instid1(VALU_DEP_3)
	v_mul_f64_e32 v[2:3], 0.5, v[2:3]
	s_wait_loadcnt 0x0
	v_mul_f64_e32 v[8:9], v[6:7], v[15:16]
	s_delay_alu instid0(VALU_DEP_2) | instskip(SKIP_1) | instid1(VALU_DEP_3)
	v_fma_f64 v[10:11], v[4:5], v[15:16], v[2:3]
	v_fma_f64 v[2:3], v[4:5], v[15:16], -v[2:3]
	v_fma_f64 v[17:18], v[0:1], 0.5, v[8:9]
	v_fma_f64 v[0:1], v[0:1], 0.5, -v[8:9]
	s_delay_alu instid0(VALU_DEP_4) | instskip(NEXT) | instid1(VALU_DEP_4)
	v_fma_f64 v[8:9], -v[13:14], v[6:7], v[10:11]
	v_fma_f64 v[2:3], -v[13:14], v[6:7], v[2:3]
	v_dual_mov_b32 v10, v64 :: v_dual_mov_b32 v11, v65
	v_fma_f64 v[15:16], v[4:5], v[13:14], v[17:18]
	v_fma_f64 v[0:1], -v[4:5], v[13:14], v[0:1]
                                        ; implicit-def: $vgpr4_vgpr5
	ds_store_b64 v70, v[15:16]
.LBB0_19:
	s_wait_alu 0xfffe
	s_and_not1_saveexec_b32 s0, s0
	s_cbranch_execz .LBB0_21
; %bb.20:
	s_wait_dscnt 0x0
	v_add_f64_e32 v[13:14], v[4:5], v[6:7]
	v_add_f64_e64 v[0:1], v[4:5], -v[6:7]
	ds_load_b64 v[4:5], v71 offset:840
	v_mov_b32_e32 v8, 0
	v_dual_mov_b32 v9, 0 :: v_dual_mov_b32 v10, 0
	s_delay_alu instid0(VALU_DEP_2) | instskip(NEXT) | instid1(VALU_DEP_2)
	v_dual_mov_b32 v11, 0 :: v_dual_mov_b32 v2, v8
	v_mov_b32_e32 v3, v9
	s_wait_dscnt 0x0
	v_xor_b32_e32 v5, 0x80000000, v5
	ds_store_b64 v70, v[13:14]
	ds_store_b64 v71, v[4:5] offset:840
.LBB0_21:
	s_wait_alu 0xfffe
	s_or_b32 exec_lo, exec_lo, s0
	v_mov_b32_e32 v69, 0
	v_lshl_add_u32 v27, v68, 4, v71
	s_wait_dscnt 0x0
	s_delay_alu instid0(VALU_DEP_2) | instskip(NEXT) | instid1(VALU_DEP_1)
	v_lshlrev_b64_e32 v[4:5], 4, v[68:69]
	v_add_co_u32 v4, s0, s4, v4
	s_wait_alu 0xf1ff
	s_delay_alu instid0(VALU_DEP_2) | instskip(SKIP_4) | instid1(VALU_DEP_1)
	v_add_co_ci_u32_e64 v5, s0, s5, v5, s0
	s_add_nc_u64 s[0:1], s[4:5], 0x5b0
	global_load_b128 v[13:16], v[4:5], off offset:1456
	v_lshlrev_b64_e32 v[4:5], 4, v[10:11]
	s_wait_alu 0xfffe
	v_add_co_u32 v6, s0, s0, v4
	s_wait_alu 0xf1ff
	s_delay_alu instid0(VALU_DEP_2)
	v_add_co_ci_u32_e64 v7, s0, s1, v5, s0
	s_mov_b32 s1, exec_lo
	global_load_b128 v[17:20], v[6:7], off offset:256
	ds_store_b64 v70, v[8:9] offset:8
	ds_store_b128 v12, v[0:3] offset:1664
	ds_load_b128 v[0:3], v12 offset:1536
	ds_load_b128 v[8:11], v27
	s_wait_dscnt 0x0
	v_add_f64_e64 v[21:22], v[8:9], -v[0:1]
	v_add_f64_e32 v[23:24], v[10:11], v[2:3]
	v_add_f64_e64 v[2:3], v[10:11], -v[2:3]
	v_add_f64_e32 v[0:1], v[8:9], v[0:1]
	s_delay_alu instid0(VALU_DEP_4) | instskip(NEXT) | instid1(VALU_DEP_4)
	v_mul_f64_e32 v[10:11], 0.5, v[21:22]
	v_mul_f64_e32 v[21:22], 0.5, v[23:24]
	s_delay_alu instid0(VALU_DEP_4) | instskip(SKIP_1) | instid1(VALU_DEP_3)
	v_mul_f64_e32 v[2:3], 0.5, v[2:3]
	s_wait_loadcnt 0x1
	v_mul_f64_e32 v[8:9], v[10:11], v[15:16]
	s_delay_alu instid0(VALU_DEP_2) | instskip(SKIP_1) | instid1(VALU_DEP_3)
	v_fma_f64 v[23:24], v[21:22], v[15:16], v[2:3]
	v_fma_f64 v[15:16], v[21:22], v[15:16], -v[2:3]
	v_fma_f64 v[25:26], v[0:1], 0.5, v[8:9]
	v_fma_f64 v[8:9], v[0:1], 0.5, -v[8:9]
	s_delay_alu instid0(VALU_DEP_4) | instskip(NEXT) | instid1(VALU_DEP_4)
	v_fma_f64 v[2:3], -v[13:14], v[10:11], v[23:24]
	v_fma_f64 v[10:11], -v[13:14], v[10:11], v[15:16]
	s_delay_alu instid0(VALU_DEP_4) | instskip(NEXT) | instid1(VALU_DEP_4)
	v_fma_f64 v[0:1], v[21:22], v[13:14], v[25:26]
	v_fma_f64 v[8:9], -v[21:22], v[13:14], v[8:9]
	global_load_b128 v[13:16], v[6:7], off offset:384
	ds_store_b128 v27, v[0:3]
	ds_store_b128 v12, v[8:11] offset:1536
	ds_load_b128 v[0:3], v70 offset:256
	ds_load_b128 v[8:11], v12 offset:1408
	s_wait_dscnt 0x0
	v_add_f64_e64 v[21:22], v[0:1], -v[8:9]
	v_add_f64_e32 v[23:24], v[2:3], v[10:11]
	v_add_f64_e64 v[2:3], v[2:3], -v[10:11]
	v_add_f64_e32 v[0:1], v[0:1], v[8:9]
	s_delay_alu instid0(VALU_DEP_4) | instskip(NEXT) | instid1(VALU_DEP_4)
	v_mul_f64_e32 v[10:11], 0.5, v[21:22]
	v_mul_f64_e32 v[21:22], 0.5, v[23:24]
	s_delay_alu instid0(VALU_DEP_4) | instskip(SKIP_1) | instid1(VALU_DEP_3)
	v_mul_f64_e32 v[2:3], 0.5, v[2:3]
	s_wait_loadcnt 0x1
	v_mul_f64_e32 v[8:9], v[10:11], v[19:20]
	s_delay_alu instid0(VALU_DEP_2) | instskip(SKIP_1) | instid1(VALU_DEP_3)
	v_fma_f64 v[23:24], v[21:22], v[19:20], v[2:3]
	v_fma_f64 v[19:20], v[21:22], v[19:20], -v[2:3]
	v_fma_f64 v[25:26], v[0:1], 0.5, v[8:9]
	v_fma_f64 v[8:9], v[0:1], 0.5, -v[8:9]
	s_delay_alu instid0(VALU_DEP_4) | instskip(NEXT) | instid1(VALU_DEP_4)
	v_fma_f64 v[2:3], -v[17:18], v[10:11], v[23:24]
	v_fma_f64 v[10:11], -v[17:18], v[10:11], v[19:20]
	s_delay_alu instid0(VALU_DEP_4) | instskip(NEXT) | instid1(VALU_DEP_4)
	v_fma_f64 v[0:1], v[21:22], v[17:18], v[25:26]
	v_fma_f64 v[8:9], -v[21:22], v[17:18], v[8:9]
	global_load_b128 v[17:20], v[6:7], off offset:512
	ds_store_b128 v70, v[0:3] offset:256
	ds_store_b128 v12, v[8:11] offset:1408
	ds_load_b128 v[0:3], v70 offset:384
	ds_load_b128 v[8:11], v12 offset:1280
	s_wait_dscnt 0x0
	v_add_f64_e64 v[21:22], v[0:1], -v[8:9]
	v_add_f64_e32 v[23:24], v[2:3], v[10:11]
	v_add_f64_e64 v[2:3], v[2:3], -v[10:11]
	v_add_f64_e32 v[0:1], v[0:1], v[8:9]
	s_delay_alu instid0(VALU_DEP_4) | instskip(NEXT) | instid1(VALU_DEP_4)
	v_mul_f64_e32 v[10:11], 0.5, v[21:22]
	v_mul_f64_e32 v[21:22], 0.5, v[23:24]
	s_delay_alu instid0(VALU_DEP_4) | instskip(SKIP_1) | instid1(VALU_DEP_3)
	v_mul_f64_e32 v[2:3], 0.5, v[2:3]
	s_wait_loadcnt 0x1
	v_mul_f64_e32 v[8:9], v[10:11], v[15:16]
	s_delay_alu instid0(VALU_DEP_2) | instskip(SKIP_1) | instid1(VALU_DEP_3)
	v_fma_f64 v[23:24], v[21:22], v[15:16], v[2:3]
	v_fma_f64 v[15:16], v[21:22], v[15:16], -v[2:3]
	v_fma_f64 v[25:26], v[0:1], 0.5, v[8:9]
	v_fma_f64 v[8:9], v[0:1], 0.5, -v[8:9]
	s_delay_alu instid0(VALU_DEP_4) | instskip(NEXT) | instid1(VALU_DEP_4)
	v_fma_f64 v[2:3], -v[13:14], v[10:11], v[23:24]
	v_fma_f64 v[10:11], -v[13:14], v[10:11], v[15:16]
	s_delay_alu instid0(VALU_DEP_4) | instskip(NEXT) | instid1(VALU_DEP_4)
	v_fma_f64 v[0:1], v[21:22], v[13:14], v[25:26]
	v_fma_f64 v[8:9], -v[21:22], v[13:14], v[8:9]
	global_load_b128 v[13:16], v[6:7], off offset:640
	ds_store_b128 v70, v[0:3] offset:384
	ds_store_b128 v12, v[8:11] offset:1280
	ds_load_b128 v[0:3], v70 offset:512
	ds_load_b128 v[8:11], v12 offset:1152
	s_wait_dscnt 0x0
	v_add_f64_e64 v[21:22], v[0:1], -v[8:9]
	v_add_f64_e32 v[23:24], v[2:3], v[10:11]
	v_add_f64_e64 v[2:3], v[2:3], -v[10:11]
	v_add_f64_e32 v[0:1], v[0:1], v[8:9]
	s_delay_alu instid0(VALU_DEP_4) | instskip(NEXT) | instid1(VALU_DEP_4)
	v_mul_f64_e32 v[10:11], 0.5, v[21:22]
	v_mul_f64_e32 v[21:22], 0.5, v[23:24]
	s_delay_alu instid0(VALU_DEP_4) | instskip(SKIP_1) | instid1(VALU_DEP_3)
	v_mul_f64_e32 v[2:3], 0.5, v[2:3]
	s_wait_loadcnt 0x1
	v_mul_f64_e32 v[8:9], v[10:11], v[19:20]
	s_delay_alu instid0(VALU_DEP_2) | instskip(SKIP_1) | instid1(VALU_DEP_3)
	v_fma_f64 v[23:24], v[21:22], v[19:20], v[2:3]
	v_fma_f64 v[19:20], v[21:22], v[19:20], -v[2:3]
	v_fma_f64 v[25:26], v[0:1], 0.5, v[8:9]
	v_fma_f64 v[8:9], v[0:1], 0.5, -v[8:9]
	s_delay_alu instid0(VALU_DEP_4) | instskip(NEXT) | instid1(VALU_DEP_4)
	v_fma_f64 v[2:3], -v[17:18], v[10:11], v[23:24]
	v_fma_f64 v[10:11], -v[17:18], v[10:11], v[19:20]
	s_delay_alu instid0(VALU_DEP_4) | instskip(NEXT) | instid1(VALU_DEP_4)
	v_fma_f64 v[0:1], v[21:22], v[17:18], v[25:26]
	v_fma_f64 v[8:9], -v[21:22], v[17:18], v[8:9]
	ds_store_b128 v70, v[0:3] offset:512
	ds_store_b128 v12, v[8:11] offset:1152
	ds_load_b128 v[0:3], v70 offset:640
	ds_load_b128 v[8:11], v12 offset:1024
	s_wait_dscnt 0x0
	v_add_f64_e64 v[17:18], v[0:1], -v[8:9]
	v_add_f64_e32 v[19:20], v[2:3], v[10:11]
	v_add_f64_e64 v[2:3], v[2:3], -v[10:11]
	v_add_f64_e32 v[0:1], v[0:1], v[8:9]
	s_delay_alu instid0(VALU_DEP_4) | instskip(NEXT) | instid1(VALU_DEP_4)
	v_mul_f64_e32 v[10:11], 0.5, v[17:18]
	v_mul_f64_e32 v[17:18], 0.5, v[19:20]
	s_delay_alu instid0(VALU_DEP_4) | instskip(SKIP_1) | instid1(VALU_DEP_3)
	v_mul_f64_e32 v[2:3], 0.5, v[2:3]
	s_wait_loadcnt 0x0
	v_mul_f64_e32 v[8:9], v[10:11], v[15:16]
	s_delay_alu instid0(VALU_DEP_2) | instskip(SKIP_1) | instid1(VALU_DEP_3)
	v_fma_f64 v[19:20], v[17:18], v[15:16], v[2:3]
	v_fma_f64 v[15:16], v[17:18], v[15:16], -v[2:3]
	v_fma_f64 v[21:22], v[0:1], 0.5, v[8:9]
	v_fma_f64 v[8:9], v[0:1], 0.5, -v[8:9]
	s_delay_alu instid0(VALU_DEP_4) | instskip(NEXT) | instid1(VALU_DEP_4)
	v_fma_f64 v[2:3], -v[13:14], v[10:11], v[19:20]
	v_fma_f64 v[10:11], -v[13:14], v[10:11], v[15:16]
	s_delay_alu instid0(VALU_DEP_4) | instskip(NEXT) | instid1(VALU_DEP_4)
	v_fma_f64 v[0:1], v[17:18], v[13:14], v[21:22]
	v_fma_f64 v[8:9], -v[17:18], v[13:14], v[8:9]
	v_or_b32_e32 v13, 48, v64
	ds_store_b128 v70, v[0:3] offset:640
	ds_store_b128 v12, v[8:11] offset:1024
	v_cmpx_gt_u32_e32 52, v13
	s_cbranch_execz .LBB0_23
; %bb.22:
	global_load_b128 v[0:3], v[6:7], off offset:768
	ds_load_b128 v[6:9], v70 offset:768
	ds_load_b128 v[13:16], v12 offset:896
	s_wait_dscnt 0x0
	v_add_f64_e64 v[10:11], v[6:7], -v[13:14]
	v_add_f64_e32 v[17:18], v[8:9], v[15:16]
	v_add_f64_e64 v[8:9], v[8:9], -v[15:16]
	v_add_f64_e32 v[6:7], v[6:7], v[13:14]
	s_delay_alu instid0(VALU_DEP_4) | instskip(NEXT) | instid1(VALU_DEP_4)
	v_mul_f64_e32 v[10:11], 0.5, v[10:11]
	v_mul_f64_e32 v[15:16], 0.5, v[17:18]
	s_delay_alu instid0(VALU_DEP_4) | instskip(SKIP_1) | instid1(VALU_DEP_3)
	v_mul_f64_e32 v[8:9], 0.5, v[8:9]
	s_wait_loadcnt 0x0
	v_mul_f64_e32 v[13:14], v[10:11], v[2:3]
	s_delay_alu instid0(VALU_DEP_2) | instskip(SKIP_1) | instid1(VALU_DEP_3)
	v_fma_f64 v[17:18], v[15:16], v[2:3], v[8:9]
	v_fma_f64 v[2:3], v[15:16], v[2:3], -v[8:9]
	v_fma_f64 v[19:20], v[6:7], 0.5, v[13:14]
	v_fma_f64 v[13:14], v[6:7], 0.5, -v[13:14]
	s_delay_alu instid0(VALU_DEP_4) | instskip(NEXT) | instid1(VALU_DEP_4)
	v_fma_f64 v[8:9], -v[0:1], v[10:11], v[17:18]
	v_fma_f64 v[2:3], -v[0:1], v[10:11], v[2:3]
	s_delay_alu instid0(VALU_DEP_4) | instskip(NEXT) | instid1(VALU_DEP_4)
	v_fma_f64 v[6:7], v[15:16], v[0:1], v[19:20]
	v_fma_f64 v[0:1], -v[15:16], v[0:1], v[13:14]
	ds_store_b128 v70, v[6:9] offset:768
	ds_store_b128 v12, v[0:3] offset:896
.LBB0_23:
	s_wait_alu 0xfffe
	s_or_b32 exec_lo, exec_lo, s1
	global_wb scope:SCOPE_SE
	s_wait_dscnt 0x0
	s_barrier_signal -1
	s_barrier_wait -1
	global_inv scope:SCOPE_SE
	s_and_saveexec_b32 s0, vcc_lo
	s_cbranch_execz .LBB0_26
; %bb.24:
	ds_load_b128 v[6:9], v70
	ds_load_b128 v[10:13], v70 offset:128
	ds_load_b128 v[14:17], v70 offset:256
	;; [unrolled: 1-line block ×12, first 2 shown]
	v_add_co_u32 v0, vcc_lo, s8, v66
	s_wait_alu 0xfffd
	v_add_co_ci_u32_e32 v1, vcc_lo, s9, v67, vcc_lo
	s_delay_alu instid0(VALU_DEP_2) | instskip(SKIP_1) | instid1(VALU_DEP_2)
	v_add_co_u32 v2, vcc_lo, v0, v4
	s_wait_alu 0xfffd
	v_add_co_ci_u32_e32 v3, vcc_lo, v1, v5, vcc_lo
	v_cmp_eq_u32_e32 vcc_lo, 7, v64
	s_wait_dscnt 0xc
	global_store_b128 v[2:3], v[6:9], off
	s_wait_dscnt 0xb
	global_store_b128 v[2:3], v[10:13], off offset:128
	s_wait_dscnt 0xa
	global_store_b128 v[2:3], v[14:17], off offset:256
	;; [unrolled: 2-line block ×12, first 2 shown]
	s_and_b32 exec_lo, exec_lo, vcc_lo
	s_cbranch_execz .LBB0_26
; %bb.25:
	ds_load_b128 v[2:5], v70 offset:1552
	s_wait_dscnt 0x0
	global_store_b128 v[0:1], v[2:5], off offset:1664
.LBB0_26:
	s_nop 0
	s_sendmsg sendmsg(MSG_DEALLOC_VGPRS)
	s_endpgm
	.section	.rodata,"a",@progbits
	.p2align	6, 0x0
	.amdhsa_kernel fft_rtc_back_len104_factors_13_8_wgs_64_tpt_8_halfLds_dp_ip_CI_unitstride_sbrr_R2C_dirReg
		.amdhsa_group_segment_fixed_size 0
		.amdhsa_private_segment_fixed_size 0
		.amdhsa_kernarg_size 88
		.amdhsa_user_sgpr_count 2
		.amdhsa_user_sgpr_dispatch_ptr 0
		.amdhsa_user_sgpr_queue_ptr 0
		.amdhsa_user_sgpr_kernarg_segment_ptr 1
		.amdhsa_user_sgpr_dispatch_id 0
		.amdhsa_user_sgpr_private_segment_size 0
		.amdhsa_wavefront_size32 1
		.amdhsa_uses_dynamic_stack 0
		.amdhsa_enable_private_segment 0
		.amdhsa_system_sgpr_workgroup_id_x 1
		.amdhsa_system_sgpr_workgroup_id_y 0
		.amdhsa_system_sgpr_workgroup_id_z 0
		.amdhsa_system_sgpr_workgroup_info 0
		.amdhsa_system_vgpr_workitem_id 0
		.amdhsa_next_free_vgpr 243
		.amdhsa_next_free_sgpr 42
		.amdhsa_reserve_vcc 1
		.amdhsa_float_round_mode_32 0
		.amdhsa_float_round_mode_16_64 0
		.amdhsa_float_denorm_mode_32 3
		.amdhsa_float_denorm_mode_16_64 3
		.amdhsa_fp16_overflow 0
		.amdhsa_workgroup_processor_mode 1
		.amdhsa_memory_ordered 1
		.amdhsa_forward_progress 0
		.amdhsa_round_robin_scheduling 0
		.amdhsa_exception_fp_ieee_invalid_op 0
		.amdhsa_exception_fp_denorm_src 0
		.amdhsa_exception_fp_ieee_div_zero 0
		.amdhsa_exception_fp_ieee_overflow 0
		.amdhsa_exception_fp_ieee_underflow 0
		.amdhsa_exception_fp_ieee_inexact 0
		.amdhsa_exception_int_div_zero 0
	.end_amdhsa_kernel
	.text
.Lfunc_end0:
	.size	fft_rtc_back_len104_factors_13_8_wgs_64_tpt_8_halfLds_dp_ip_CI_unitstride_sbrr_R2C_dirReg, .Lfunc_end0-fft_rtc_back_len104_factors_13_8_wgs_64_tpt_8_halfLds_dp_ip_CI_unitstride_sbrr_R2C_dirReg
                                        ; -- End function
	.section	.AMDGPU.csdata,"",@progbits
; Kernel info:
; codeLenInByte = 8340
; NumSgprs: 44
; NumVgprs: 243
; ScratchSize: 0
; MemoryBound: 0
; FloatMode: 240
; IeeeMode: 1
; LDSByteSize: 0 bytes/workgroup (compile time only)
; SGPRBlocks: 5
; VGPRBlocks: 30
; NumSGPRsForWavesPerEU: 44
; NumVGPRsForWavesPerEU: 243
; Occupancy: 5
; WaveLimiterHint : 1
; COMPUTE_PGM_RSRC2:SCRATCH_EN: 0
; COMPUTE_PGM_RSRC2:USER_SGPR: 2
; COMPUTE_PGM_RSRC2:TRAP_HANDLER: 0
; COMPUTE_PGM_RSRC2:TGID_X_EN: 1
; COMPUTE_PGM_RSRC2:TGID_Y_EN: 0
; COMPUTE_PGM_RSRC2:TGID_Z_EN: 0
; COMPUTE_PGM_RSRC2:TIDIG_COMP_CNT: 0
	.text
	.p2alignl 7, 3214868480
	.fill 96, 4, 3214868480
	.type	__hip_cuid_d85b4a5c0c2e1fef,@object ; @__hip_cuid_d85b4a5c0c2e1fef
	.section	.bss,"aw",@nobits
	.globl	__hip_cuid_d85b4a5c0c2e1fef
__hip_cuid_d85b4a5c0c2e1fef:
	.byte	0                               ; 0x0
	.size	__hip_cuid_d85b4a5c0c2e1fef, 1

	.ident	"AMD clang version 19.0.0git (https://github.com/RadeonOpenCompute/llvm-project roc-6.4.0 25133 c7fe45cf4b819c5991fe208aaa96edf142730f1d)"
	.section	".note.GNU-stack","",@progbits
	.addrsig
	.addrsig_sym __hip_cuid_d85b4a5c0c2e1fef
	.amdgpu_metadata
---
amdhsa.kernels:
  - .args:
      - .actual_access:  read_only
        .address_space:  global
        .offset:         0
        .size:           8
        .value_kind:     global_buffer
      - .offset:         8
        .size:           8
        .value_kind:     by_value
      - .actual_access:  read_only
        .address_space:  global
        .offset:         16
        .size:           8
        .value_kind:     global_buffer
      - .actual_access:  read_only
        .address_space:  global
        .offset:         24
        .size:           8
        .value_kind:     global_buffer
      - .offset:         32
        .size:           8
        .value_kind:     by_value
      - .actual_access:  read_only
        .address_space:  global
        .offset:         40
        .size:           8
        .value_kind:     global_buffer
      - .actual_access:  read_only
        .address_space:  global
        .offset:         48
        .size:           8
        .value_kind:     global_buffer
      - .offset:         56
        .size:           4
        .value_kind:     by_value
      - .actual_access:  read_only
        .address_space:  global
        .offset:         64
        .size:           8
        .value_kind:     global_buffer
      - .actual_access:  read_only
        .address_space:  global
        .offset:         72
        .size:           8
        .value_kind:     global_buffer
      - .address_space:  global
        .offset:         80
        .size:           8
        .value_kind:     global_buffer
    .group_segment_fixed_size: 0
    .kernarg_segment_align: 8
    .kernarg_segment_size: 88
    .language:       OpenCL C
    .language_version:
      - 2
      - 0
    .max_flat_workgroup_size: 64
    .name:           fft_rtc_back_len104_factors_13_8_wgs_64_tpt_8_halfLds_dp_ip_CI_unitstride_sbrr_R2C_dirReg
    .private_segment_fixed_size: 0
    .sgpr_count:     44
    .sgpr_spill_count: 0
    .symbol:         fft_rtc_back_len104_factors_13_8_wgs_64_tpt_8_halfLds_dp_ip_CI_unitstride_sbrr_R2C_dirReg.kd
    .uniform_work_group_size: 1
    .uses_dynamic_stack: false
    .vgpr_count:     243
    .vgpr_spill_count: 0
    .wavefront_size: 32
    .workgroup_processor_mode: 1
amdhsa.target:   amdgcn-amd-amdhsa--gfx1201
amdhsa.version:
  - 1
  - 2
...

	.end_amdgpu_metadata
